;; amdgpu-corpus repo=ROCm/rocFFT kind=compiled arch=gfx1030 opt=O3
	.text
	.amdgcn_target "amdgcn-amd-amdhsa--gfx1030"
	.amdhsa_code_object_version 6
	.protected	fft_rtc_fwd_len168_factors_2_6_7_2_wgs_140_tpt_14_dim2_sp_ip_CI_sbcc_twdbase8_3step_dirReg ; -- Begin function fft_rtc_fwd_len168_factors_2_6_7_2_wgs_140_tpt_14_dim2_sp_ip_CI_sbcc_twdbase8_3step_dirReg
	.globl	fft_rtc_fwd_len168_factors_2_6_7_2_wgs_140_tpt_14_dim2_sp_ip_CI_sbcc_twdbase8_3step_dirReg
	.p2align	8
	.type	fft_rtc_fwd_len168_factors_2_6_7_2_wgs_140_tpt_14_dim2_sp_ip_CI_sbcc_twdbase8_3step_dirReg,@function
fft_rtc_fwd_len168_factors_2_6_7_2_wgs_140_tpt_14_dim2_sp_ip_CI_sbcc_twdbase8_3step_dirReg: ; @fft_rtc_fwd_len168_factors_2_6_7_2_wgs_140_tpt_14_dim2_sp_ip_CI_sbcc_twdbase8_3step_dirReg
; %bb.0:
	s_load_dwordx4 s[0:3], s[4:5], 0x10
	s_mov_b64 s[18:19], 0
	s_waitcnt lgkmcnt(0)
	s_load_dwordx2 s[14:15], s[0:1], 0x8
	s_waitcnt lgkmcnt(0)
	s_add_u32 s0, s14, -1
	s_addc_u32 s1, s15, -1
	s_add_u32 s7, 0, 0x99986000
	s_addc_u32 s8, 0, 0x59
	s_mul_hi_u32 s10, s7, -10
	s_add_i32 s8, s8, 0x19999940
	s_sub_i32 s10, s10, s7
	s_mul_i32 s12, s8, -10
	s_mul_i32 s9, s7, -10
	s_add_i32 s10, s10, s12
	s_mul_hi_u32 s11, s7, s9
	s_mul_i32 s16, s7, s10
	s_mul_hi_u32 s12, s7, s10
	s_mul_hi_u32 s13, s8, s9
	s_mul_i32 s9, s8, s9
	s_add_u32 s11, s11, s16
	s_addc_u32 s12, 0, s12
	s_mul_hi_u32 s17, s8, s10
	s_add_u32 s9, s11, s9
	s_mul_i32 s10, s8, s10
	s_addc_u32 s9, s12, s13
	s_addc_u32 s11, s17, 0
	s_add_u32 s9, s9, s10
	v_add_co_u32 v1, s7, s7, s9
	s_addc_u32 s9, 0, s11
	s_cmp_lg_u32 s7, 0
	s_addc_u32 s7, s8, s9
	v_readfirstlane_b32 s8, v1
	s_mul_i32 s10, s0, s7
	s_mul_hi_u32 s9, s0, s7
	s_mul_hi_u32 s11, s1, s7
	s_mul_i32 s7, s1, s7
	s_mul_hi_u32 s12, s0, s8
	s_mul_hi_u32 s13, s1, s8
	s_mul_i32 s8, s1, s8
	s_add_u32 s10, s12, s10
	s_addc_u32 s9, 0, s9
	s_add_u32 s8, s10, s8
	s_addc_u32 s8, s9, s13
	s_addc_u32 s9, s11, 0
	s_add_u32 s12, s8, s7
	s_addc_u32 s13, 0, s9
	s_mul_i32 s8, s12, 10
	s_add_u32 s7, s12, 1
	v_sub_co_u32 v1, s0, s0, s8
	s_mul_hi_u32 s8, s12, 10
	s_addc_u32 s9, s13, 0
	s_mul_i32 s10, s13, 10
	v_sub_co_u32 v2, s11, v1, 10
	s_add_u32 s16, s12, 2
	s_addc_u32 s17, s13, 0
	s_add_i32 s8, s8, s10
	s_cmp_lg_u32 s0, 0
	v_readfirstlane_b32 s0, v2
	s_subb_u32 s1, s1, s8
	s_cmp_lg_u32 s11, 0
	s_load_dwordx2 s[10:11], s[4:5], 0x50
	s_subb_u32 s8, s1, 0
	s_cmp_gt_u32 s0, 9
	s_cselect_b32 s0, -1, 0
	s_cmp_eq_u32 s8, 0
	v_readfirstlane_b32 s8, v1
	s_cselect_b32 s0, s0, -1
	s_cmp_lg_u32 s0, 0
	s_cselect_b32 s0, s16, s7
	s_cselect_b32 s16, s17, s9
	s_cmp_gt_u32 s8, 9
	s_load_dwordx2 s[8:9], s[2:3], 0x0
	s_cselect_b32 s7, -1, 0
	s_cmp_eq_u32 s1, 0
	s_cselect_b32 s1, s7, -1
	s_mov_b32 s7, 0
	s_cmp_lg_u32 s1, 0
	s_cselect_b32 s0, s0, s12
	s_cselect_b32 s1, s16, s13
	s_add_u32 s16, s0, 1
	s_addc_u32 s17, s1, 0
	v_cmp_lt_u64_e64 s0, s[6:7], s[16:17]
	s_mov_b32 s7, -1
	s_and_b32 vcc_lo, exec_lo, s0
	s_cbranch_vccnz .LBB0_2
; %bb.1:
	v_cvt_f32_u32_e32 v1, s16
	s_sub_i32 s1, 0, s16
	v_rcp_iflag_f32_e32 v1, v1
	v_mul_f32_e32 v1, 0x4f7ffffe, v1
	v_cvt_u32_f32_e32 v1, v1
	v_readfirstlane_b32 s0, v1
	s_mul_i32 s1, s1, s0
	s_mul_hi_u32 s1, s0, s1
	s_add_i32 s0, s0, s1
	s_mul_hi_u32 s0, s6, s0
	s_mul_i32 s1, s0, s16
	s_add_i32 s12, s0, 1
	s_sub_i32 s1, s6, s1
	s_sub_i32 s13, s1, s16
	s_cmp_ge_u32 s1, s16
	s_cselect_b32 s0, s12, s0
	s_cselect_b32 s1, s13, s1
	s_add_i32 s12, s0, 1
	s_cmp_ge_u32 s1, s16
	s_cselect_b32 s18, s12, s0
.LBB0_2:
	s_load_dwordx4 s[0:3], s[2:3], 0x8
	v_mul_u32_u24_e32 v1, 0x199a, v0
	s_mul_i32 s17, s18, s17
	s_mul_hi_u32 s19, s18, s16
	s_mul_i32 s16, s18, s16
	s_add_i32 s19, s19, s17
	v_lshrrev_b32_e32 v38, 16, v1
	s_sub_u32 s6, s6, s16
	s_subb_u32 s16, 0, s19
	s_load_dwordx2 s[12:13], s[4:5], 0x0
	s_mul_hi_u32 s17, s6, 10
	v_mul_lo_u16 v1, v38, 10
	s_mul_i32 s16, s16, 10
	s_mul_i32 s6, s6, 10
	s_add_i32 s19, s17, s16
	v_sub_nc_u16 v32, v0, v1
	s_waitcnt lgkmcnt(0)
	s_mul_i32 s17, s6, s1
	s_mul_hi_u32 s20, s6, s0
	s_mul_i32 s16, s19, s0
	s_mul_i32 s3, s3, s18
	s_mul_hi_u32 s22, s2, s18
	s_add_i32 s17, s20, s17
	s_mul_i32 s21, s6, s0
	s_mul_i32 s2, s2, s18
	s_add_i32 s17, s17, s16
	s_add_i32 s22, s22, s3
	s_add_u32 s2, s2, s21
	v_and_b32_e32 v33, 0xffff, v32
	s_addc_u32 s3, s22, s17
	s_add_u32 s16, s6, 10
	s_addc_u32 s17, s19, 0
	v_cmp_gt_u64_e64 s18, s[16:17], s[14:15]
	v_add_co_u32 v21, s6, s6, v33
	v_add_co_ci_u32_e64 v22, null, s19, 0, s6
	v_cmp_le_u64_e64 s6, s[16:17], s[14:15]
	s_and_b32 vcc_lo, exec_lo, s18
	s_cbranch_vccz .LBB0_8
; %bb.3:
	s_mov_b32 s7, exec_lo
                                        ; implicit-def: $vgpr31
                                        ; implicit-def: $vgpr34
                                        ; implicit-def: $vgpr35
                                        ; implicit-def: $vgpr36
                                        ; implicit-def: $vgpr37
	v_cmpx_le_u64_e64 s[14:15], v[21:22]
	s_xor_b32 s7, exec_lo, s7
; %bb.4:
	v_add_nc_u32_e32 v31, 14, v38
	v_add_nc_u32_e32 v34, 28, v38
	;; [unrolled: 1-line block ×5, first 2 shown]
; %bb.5:
	s_or_saveexec_b32 s7, s7
                                        ; implicit-def: $vgpr1
                                        ; implicit-def: $vgpr17
                                        ; implicit-def: $vgpr13
                                        ; implicit-def: $vgpr9
                                        ; implicit-def: $vgpr15
                                        ; implicit-def: $vgpr11
                                        ; implicit-def: $vgpr25
                                        ; implicit-def: $vgpr19
                                        ; implicit-def: $vgpr23
                                        ; implicit-def: $vgpr3
                                        ; implicit-def: $vgpr7
                                        ; implicit-def: $vgpr5
	s_xor_b32 exec_lo, exec_lo, s7
	s_cbranch_execz .LBB0_7
; %bb.6:
	v_mad_u64_u32 v[1:2], null, s0, v33, 0
	v_mad_u64_u32 v[3:4], null, s8, v38, 0
	v_add_nc_u32_e32 v11, 0x54, v38
	v_add_nc_u32_e32 v31, 14, v38
	;; [unrolled: 1-line block ×3, first 2 shown]
	s_lshl_b64 s[16:17], s[2:3], 3
	v_add_nc_u32_e32 v34, 28, v38
	s_add_u32 s16, s10, s16
	v_mad_u64_u32 v[5:6], null, s1, v33, v[2:3]
	v_mad_u64_u32 v[9:10], null, s8, v31, 0
	s_addc_u32 s17, s11, s17
	v_add_nc_u32_e32 v20, 0x70, v38
	v_add_nc_u32_e32 v35, 42, v38
	;; [unrolled: 1-line block ×3, first 2 shown]
	v_mad_u64_u32 v[6:7], null, s9, v38, v[4:5]
	v_mad_u64_u32 v[7:8], null, s8, v11, 0
	v_mov_b32_e32 v2, v5
	v_mad_u64_u32 v[18:19], null, s8, v35, 0
	v_add_nc_u32_e32 v28, 0x8c, v38
	v_mov_b32_e32 v4, v6
	v_mov_b32_e32 v6, v10
	;; [unrolled: 1-line block ×3, first 2 shown]
	v_lshlrev_b64 v[1:2], 3, v[1:2]
	v_add_nc_u32_e32 v37, 0x46, v38
	v_lshlrev_b64 v[3:4], 3, v[3:4]
	v_mad_u64_u32 v[10:11], null, s9, v11, v[5:6]
	v_mad_u64_u32 v[5:6], null, s9, v31, v[6:7]
	;; [unrolled: 1-line block ×3, first 2 shown]
	v_add_co_u32 v43, vcc_lo, s16, v1
	v_add_co_ci_u32_e32 v44, vcc_lo, s17, v2, vcc_lo
	v_mov_b32_e32 v8, v10
	v_add_co_u32 v1, vcc_lo, v43, v3
	v_add_co_ci_u32_e32 v2, vcc_lo, v44, v4, vcc_lo
	v_mov_b32_e32 v10, v5
	v_lshlrev_b64 v[4:5], 3, v[7:8]
	v_mov_b32_e32 v3, v12
	v_mad_u64_u32 v[26:27], null, s8, v37, 0
	v_mad_u64_u32 v[6:7], null, s9, v13, v[3:4]
	v_lshlrev_b64 v[7:8], 3, v[9:10]
	v_mad_u64_u32 v[9:10], null, s8, v34, 0
	v_add_co_u32 v3, vcc_lo, v43, v4
	v_add_co_ci_u32_e32 v4, vcc_lo, v44, v5, vcc_lo
	v_mov_b32_e32 v12, v6
	v_add_co_u32 v13, vcc_lo, v43, v7
	v_mov_b32_e32 v5, v10
	v_add_co_ci_u32_e32 v14, vcc_lo, v44, v8, vcc_lo
	v_lshlrev_b64 v[6:7], 3, v[11:12]
	v_mad_u64_u32 v[11:12], null, s8, v20, 0
	v_mad_u64_u32 v[15:16], null, s9, v34, v[5:6]
	v_add_co_u32 v16, vcc_lo, v43, v6
	v_mov_b32_e32 v5, v12
	v_add_co_ci_u32_e32 v17, vcc_lo, v44, v7, vcc_lo
	v_mov_b32_e32 v10, v15
	v_mad_u64_u32 v[23:24], null, s9, v20, v[5:6]
	s_clause 0x3
	global_load_dwordx2 v[5:6], v[1:2], off
	global_load_dwordx2 v[7:8], v[3:4], off
	;; [unrolled: 1-line block ×4, first 2 shown]
	v_mov_b32_e32 v13, v19
	v_add_nc_u32_e32 v20, 0x7e, v38
	v_mad_u64_u32 v[16:17], null, s8, v36, 0
	v_lshlrev_b64 v[9:10], 3, v[9:10]
	v_mad_u64_u32 v[13:14], null, s9, v35, v[13:14]
	v_mad_u64_u32 v[14:15], null, s8, v20, 0
	v_mov_b32_e32 v12, v23
	v_add_co_u32 v9, vcc_lo, v43, v9
	v_add_co_ci_u32_e32 v10, vcc_lo, v44, v10, vcc_lo
	v_mov_b32_e32 v19, v13
	v_mov_b32_e32 v13, v15
	v_lshlrev_b64 v[11:12], 3, v[11:12]
	v_mad_u64_u32 v[23:24], null, s9, v20, v[13:14]
	v_mad_u64_u32 v[24:25], null, s8, v28, 0
	v_mov_b32_e32 v13, v17
	v_lshlrev_b64 v[17:18], 3, v[18:19]
	v_add_co_u32 v11, vcc_lo, v43, v11
	v_mov_b32_e32 v15, v23
	v_mad_u64_u32 v[19:20], null, s9, v36, v[13:14]
	v_mov_b32_e32 v13, v25
	v_add_nc_u32_e32 v20, 0x9a, v38
	v_add_co_ci_u32_e32 v12, vcc_lo, v44, v12, vcc_lo
	v_add_co_u32 v39, vcc_lo, v43, v17
	v_mad_u64_u32 v[28:29], null, s9, v28, v[13:14]
	v_mad_u64_u32 v[29:30], null, s8, v20, 0
	v_lshlrev_b64 v[14:15], 3, v[14:15]
	v_mov_b32_e32 v13, v27
	v_add_co_ci_u32_e32 v40, vcc_lo, v44, v18, vcc_lo
	v_mov_b32_e32 v17, v19
	v_mov_b32_e32 v25, v28
	v_mad_u64_u32 v[18:19], null, s9, v37, v[13:14]
	v_mov_b32_e32 v13, v30
	v_add_co_u32 v14, vcc_lo, v43, v14
	v_lshlrev_b64 v[16:17], 3, v[16:17]
	v_add_co_ci_u32_e32 v15, vcc_lo, v44, v15, vcc_lo
	v_mad_u64_u32 v[19:20], null, s9, v20, v[13:14]
	v_mov_b32_e32 v27, v18
	v_lshlrev_b64 v[23:24], 3, v[24:25]
	v_add_co_u32 v41, vcc_lo, v43, v16
	v_add_co_ci_u32_e32 v42, vcc_lo, v44, v17, vcc_lo
	v_mov_b32_e32 v30, v19
	v_lshlrev_b64 v[16:17], 3, v[26:27]
	v_add_co_u32 v27, vcc_lo, v43, v23
	v_add_co_ci_u32_e32 v28, vcc_lo, v44, v24, vcc_lo
	v_lshlrev_b64 v[18:19], 3, v[29:30]
	v_add_co_u32 v29, vcc_lo, v43, v16
	v_add_co_ci_u32_e32 v30, vcc_lo, v44, v17, vcc_lo
	v_add_co_u32 v43, vcc_lo, v43, v18
	v_add_co_ci_u32_e32 v44, vcc_lo, v44, v19, vcc_lo
	s_clause 0x7
	global_load_dwordx2 v[23:24], v[9:10], off
	global_load_dwordx2 v[17:18], v[11:12], off
	;; [unrolled: 1-line block ×8, first 2 shown]
.LBB0_7:
	s_or_b32 exec_lo, exec_lo, s7
	s_cbranch_execz .LBB0_9
	s_branch .LBB0_10
.LBB0_8:
                                        ; implicit-def: $vgpr1
                                        ; implicit-def: $vgpr17
                                        ; implicit-def: $vgpr13
                                        ; implicit-def: $vgpr9
                                        ; implicit-def: $vgpr15
                                        ; implicit-def: $vgpr11
                                        ; implicit-def: $vgpr25
                                        ; implicit-def: $vgpr19
                                        ; implicit-def: $vgpr23
                                        ; implicit-def: $vgpr3
                                        ; implicit-def: $vgpr7
                                        ; implicit-def: $vgpr5
                                        ; implicit-def: $vgpr31
                                        ; implicit-def: $vgpr34
                                        ; implicit-def: $vgpr35
                                        ; implicit-def: $vgpr36
                                        ; implicit-def: $vgpr37
	s_andn2_b32 vcc_lo, exec_lo, s7
	s_cbranch_vccnz .LBB0_10
.LBB0_9:
	s_waitcnt vmcnt(8)
	v_mad_u64_u32 v[1:2], null, s0, v33, 0
	v_mad_u64_u32 v[3:4], null, s8, v38, 0
	s_waitcnt vmcnt(3)
	v_add_nc_u32_e32 v11, 0x54, v38
	v_add_nc_u32_e32 v31, 14, v38
	s_waitcnt vmcnt(0)
	v_add_nc_u32_e32 v13, 0x62, v38
	s_lshl_b64 s[16:17], s[2:3], 3
	v_add_nc_u32_e32 v34, 28, v38
	s_add_u32 s7, s10, s16
	v_mad_u64_u32 v[5:6], null, s1, v33, v[2:3]
	v_mad_u64_u32 v[9:10], null, s8, v31, 0
	s_addc_u32 s16, s11, s17
	v_add_nc_u32_e32 v20, 0x70, v38
	v_add_nc_u32_e32 v35, 42, v38
	;; [unrolled: 1-line block ×3, first 2 shown]
	v_mad_u64_u32 v[6:7], null, s9, v38, v[4:5]
	v_mad_u64_u32 v[7:8], null, s8, v11, 0
	v_mov_b32_e32 v2, v5
	v_mad_u64_u32 v[18:19], null, s8, v35, 0
	v_add_nc_u32_e32 v28, 0x8c, v38
	v_mov_b32_e32 v4, v6
	v_mov_b32_e32 v6, v10
	;; [unrolled: 1-line block ×3, first 2 shown]
	v_lshlrev_b64 v[1:2], 3, v[1:2]
	v_add_nc_u32_e32 v37, 0x46, v38
	v_lshlrev_b64 v[3:4], 3, v[3:4]
	v_mad_u64_u32 v[10:11], null, s9, v11, v[5:6]
	v_mad_u64_u32 v[5:6], null, s9, v31, v[6:7]
	;; [unrolled: 1-line block ×3, first 2 shown]
	v_add_co_u32 v43, vcc_lo, s7, v1
	v_add_co_ci_u32_e32 v44, vcc_lo, s16, v2, vcc_lo
	v_mov_b32_e32 v8, v10
	v_add_co_u32 v1, vcc_lo, v43, v3
	v_add_co_ci_u32_e32 v2, vcc_lo, v44, v4, vcc_lo
	v_mov_b32_e32 v10, v5
	v_lshlrev_b64 v[4:5], 3, v[7:8]
	v_mov_b32_e32 v3, v12
	v_mad_u64_u32 v[26:27], null, s8, v37, 0
	v_mad_u64_u32 v[6:7], null, s9, v13, v[3:4]
	v_lshlrev_b64 v[7:8], 3, v[9:10]
	v_mad_u64_u32 v[9:10], null, s8, v34, 0
	v_add_co_u32 v3, vcc_lo, v43, v4
	v_add_co_ci_u32_e32 v4, vcc_lo, v44, v5, vcc_lo
	v_mov_b32_e32 v12, v6
	v_add_co_u32 v13, vcc_lo, v43, v7
	v_mov_b32_e32 v5, v10
	v_add_co_ci_u32_e32 v14, vcc_lo, v44, v8, vcc_lo
	v_lshlrev_b64 v[6:7], 3, v[11:12]
	v_mad_u64_u32 v[11:12], null, s8, v20, 0
	v_mad_u64_u32 v[15:16], null, s9, v34, v[5:6]
	v_add_co_u32 v16, vcc_lo, v43, v6
	v_mov_b32_e32 v5, v12
	v_add_co_ci_u32_e32 v17, vcc_lo, v44, v7, vcc_lo
	v_mov_b32_e32 v10, v15
	v_mad_u64_u32 v[23:24], null, s9, v20, v[5:6]
	s_clause 0x3
	global_load_dwordx2 v[5:6], v[1:2], off
	global_load_dwordx2 v[7:8], v[3:4], off
	;; [unrolled: 1-line block ×4, first 2 shown]
	v_mov_b32_e32 v13, v19
	v_add_nc_u32_e32 v20, 0x7e, v38
	v_mad_u64_u32 v[16:17], null, s8, v36, 0
	v_lshlrev_b64 v[9:10], 3, v[9:10]
	v_mad_u64_u32 v[13:14], null, s9, v35, v[13:14]
	v_mad_u64_u32 v[14:15], null, s8, v20, 0
	v_mov_b32_e32 v12, v23
	v_add_co_u32 v9, vcc_lo, v43, v9
	v_add_co_ci_u32_e32 v10, vcc_lo, v44, v10, vcc_lo
	v_mov_b32_e32 v19, v13
	v_mov_b32_e32 v13, v15
	v_lshlrev_b64 v[11:12], 3, v[11:12]
	v_mad_u64_u32 v[23:24], null, s9, v20, v[13:14]
	v_mad_u64_u32 v[24:25], null, s8, v28, 0
	v_mov_b32_e32 v13, v17
	v_lshlrev_b64 v[17:18], 3, v[18:19]
	v_add_co_u32 v11, vcc_lo, v43, v11
	v_mov_b32_e32 v15, v23
	v_mad_u64_u32 v[19:20], null, s9, v36, v[13:14]
	v_mov_b32_e32 v13, v25
	v_add_nc_u32_e32 v20, 0x9a, v38
	v_add_co_ci_u32_e32 v12, vcc_lo, v44, v12, vcc_lo
	v_add_co_u32 v39, vcc_lo, v43, v17
	v_mad_u64_u32 v[28:29], null, s9, v28, v[13:14]
	v_mad_u64_u32 v[29:30], null, s8, v20, 0
	v_lshlrev_b64 v[14:15], 3, v[14:15]
	v_mov_b32_e32 v13, v27
	v_add_co_ci_u32_e32 v40, vcc_lo, v44, v18, vcc_lo
	v_mov_b32_e32 v17, v19
	v_mov_b32_e32 v25, v28
	v_mad_u64_u32 v[18:19], null, s9, v37, v[13:14]
	v_mov_b32_e32 v13, v30
	v_add_co_u32 v14, vcc_lo, v43, v14
	v_lshlrev_b64 v[16:17], 3, v[16:17]
	v_add_co_ci_u32_e32 v15, vcc_lo, v44, v15, vcc_lo
	v_mad_u64_u32 v[19:20], null, s9, v20, v[13:14]
	v_mov_b32_e32 v27, v18
	v_lshlrev_b64 v[23:24], 3, v[24:25]
	v_add_co_u32 v41, vcc_lo, v43, v16
	v_add_co_ci_u32_e32 v42, vcc_lo, v44, v17, vcc_lo
	v_mov_b32_e32 v30, v19
	v_lshlrev_b64 v[16:17], 3, v[26:27]
	v_add_co_u32 v27, vcc_lo, v43, v23
	v_add_co_ci_u32_e32 v28, vcc_lo, v44, v24, vcc_lo
	v_lshlrev_b64 v[18:19], 3, v[29:30]
	v_add_co_u32 v29, vcc_lo, v43, v16
	v_add_co_ci_u32_e32 v30, vcc_lo, v44, v17, vcc_lo
	v_add_co_u32 v43, vcc_lo, v43, v18
	v_add_co_ci_u32_e32 v44, vcc_lo, v44, v19, vcc_lo
	s_clause 0x7
	global_load_dwordx2 v[23:24], v[9:10], off
	global_load_dwordx2 v[17:18], v[11:12], off
	;; [unrolled: 1-line block ×8, first 2 shown]
.LBB0_10:
	v_mov_b32_e32 v27, 3
	s_waitcnt vmcnt(10)
	v_sub_f32_e32 v7, v5, v7
	v_sub_f32_e32 v8, v6, v8
	v_mul_u32_u24_e32 v28, 0xa0, v38
	s_waitcnt vmcnt(8)
	v_sub_f32_e32 v1, v3, v1
	v_lshlrev_b32_sdwa v43, v27, v32 dst_sel:DWORD dst_unused:UNUSED_PAD src0_sel:DWORD src1_sel:WORD_0
	v_sub_f32_e32 v2, v4, v2
	v_mul_i32_i24_e32 v27, 0xa0, v31
	v_fma_f32 v5, v5, 2.0, -v7
	v_fma_f32 v6, v6, 2.0, -v8
	v_add3_u32 v28, 0, v28, v43
	v_fma_f32 v3, v3, 2.0, -v1
	v_fma_f32 v4, v4, 2.0, -v2
	v_add3_u32 v27, 0, v27, v43
	s_waitcnt vmcnt(6)
	v_sub_f32_e32 v17, v23, v17
	v_sub_f32_e32 v18, v24, v18
	ds_write2_b64 v28, v[5:6], v[7:8] offset1:10
	ds_write2_b64 v27, v[3:4], v[1:2] offset1:10
	v_mul_i32_i24_e32 v1, 0xa0, v34
	v_mul_i32_i24_e32 v2, 0xa0, v35
	v_and_b32_e32 v27, 1, v38
	s_waitcnt vmcnt(4)
	v_sub_f32_e32 v25, v19, v25
	v_sub_f32_e32 v26, v20, v26
	s_waitcnt vmcnt(2)
	v_sub_f32_e32 v15, v11, v15
	v_sub_f32_e32 v16, v12, v16
	v_mul_i32_i24_e32 v3, 0xa0, v36
	v_fma_f32 v23, v23, 2.0, -v17
	v_fma_f32 v24, v24, 2.0, -v18
	s_waitcnt vmcnt(0)
	v_sub_f32_e32 v13, v9, v13
	v_sub_f32_e32 v14, v10, v14
	v_mul_i32_i24_e32 v4, 0xa0, v37
	v_add3_u32 v28, 0, v1, v43
	v_add3_u32 v1, 0, v2, v43
	v_mul_u32_u24_e32 v2, 5, v27
	v_fma_f32 v19, v19, 2.0, -v25
	v_fma_f32 v20, v20, 2.0, -v26
	;; [unrolled: 1-line block ×4, first 2 shown]
	v_add3_u32 v29, 0, v3, v43
	v_fma_f32 v9, v9, 2.0, -v13
	v_fma_f32 v10, v10, 2.0, -v14
	v_add3_u32 v3, 0, v4, v43
	ds_write2_b64 v28, v[23:24], v[17:18] offset1:10
	ds_write2_b64 v1, v[19:20], v[25:26] offset1:10
	;; [unrolled: 1-line block ×3, first 2 shown]
	v_lshlrev_b32_e32 v11, 3, v2
	v_mul_i32_i24_e32 v12, 0x50, v31
	v_mad_i32_i24 v40, 0xffffffb0, v34, v28
	ds_write2_b64 v3, v[9:10], v[13:14] offset1:10
	s_waitcnt lgkmcnt(0)
	s_barrier
	buffer_gl0_inv
	s_clause 0x2
	global_load_dwordx4 v[1:4], v11, s[12:13]
	global_load_dwordx4 v[5:8], v11, s[12:13] offset:16
	global_load_dwordx2 v[23:24], v11, s[12:13] offset:32
	v_lshrrev_b32_e32 v9, 1, v38
	v_lshrrev_b32_e32 v10, 1, v31
	v_mul_u32_u24_e32 v11, 0x50, v38
	v_mad_i32_i24 v42, 0xffffffb0, v36, v29
	v_add3_u32 v41, 0, v12, v43
	v_mul_u32_u24_e32 v9, 12, v9
	v_mul_lo_u32 v10, v10, 12
	v_add3_u32 v39, 0, v11, v43
	ds_read_b64 v[25:26], v40
	v_cmp_gt_u32_e32 vcc_lo, 0x64, v0
	v_or_b32_e32 v46, v9, v27
	v_add_nc_u32_e32 v9, 0x1400, v39
	v_add_nc_u32_e32 v13, 0x1c00, v39
	v_or_b32_e32 v47, v10, v27
	ds_read_b64 v[27:28], v42
	v_add_nc_u32_e32 v17, 0x2400, v39
	ds_read2_b64 v[9:12], v9 offset0:60 offset1:200
	ds_read2_b64 v[13:16], v13 offset0:84 offset1:224
	ds_read_b64 v[29:30], v39
	ds_read_b64 v[44:45], v39 offset:3360
	ds_read2_b64 v[17:20], v17 offset0:108 offset1:248
	v_mul_u32_u24_e32 v50, 0x50, v46
	v_mul_lo_u32 v52, 0x50, v47
	ds_read_b64 v[46:47], v41
	ds_read_b64 v[48:49], v39 offset:12320
	v_add_nc_u32_e32 v51, 0xf00, v39
	v_add_nc_u32_e32 v53, 0x1e00, v39
	v_add3_u32 v50, 0, v50, v43
	s_waitcnt vmcnt(0) lgkmcnt(0)
	s_barrier
	buffer_gl0_inv
	v_add3_u32 v52, 0, v52, v43
	v_mul_f32_e32 v54, v2, v26
	v_mul_f32_e32 v55, v2, v25
	;; [unrolled: 1-line block ×20, first 2 shown]
	v_fma_f32 v54, v1, v25, -v54
	v_fmac_f32_e32 v55, v1, v26
	v_fma_f32 v25, v3, v27, -v56
	v_fmac_f32_e32 v57, v3, v28
	;; [unrolled: 2-line block ×10, first 2 shown]
	v_add_f32_e32 v12, v29, v25
	v_add_f32_e32 v13, v25, v9
	;; [unrolled: 1-line block ×3, first 2 shown]
	v_sub_f32_e32 v17, v25, v9
	v_add_f32_e32 v19, v3, v10
	v_add_f32_e32 v25, v59, v65
	v_sub_f32_e32 v14, v57, v61
	v_add_f32_e32 v15, v30, v57
	v_add_f32_e32 v23, v55, v59
	;; [unrolled: 3-line block ×3, first 2 shown]
	v_add_f32_e32 v49, v11, v7
	v_sub_f32_e32 v56, v6, v24
	v_add_f32_e32 v57, v2, v6
	v_add_f32_e32 v6, v6, v24
	;; [unrolled: 1-line block ×3, first 2 shown]
	v_sub_f32_e32 v20, v59, v65
	v_sub_f32_e32 v3, v3, v10
	v_add_f32_e32 v26, v46, v1
	v_add_f32_e32 v48, v27, v11
	v_fma_f32 v29, -0.5, v13, v29
	v_fmac_f32_e32 v30, -0.5, v16
	v_fmac_f32_e32 v54, -0.5, v19
	;; [unrolled: 1-line block ×3, first 2 shown]
	v_add_f32_e32 v28, v1, v5
	v_sub_f32_e32 v1, v1, v5
	v_sub_f32_e32 v11, v11, v7
	v_add_f32_e32 v9, v12, v9
	v_add_f32_e32 v12, v15, v61
	v_add_f32_e32 v13, v23, v65
	v_fmac_f32_e32 v47, -0.5, v4
	v_fmac_f32_e32 v27, -0.5, v49
	;; [unrolled: 1-line block ×3, first 2 shown]
	v_add_f32_e32 v10, v18, v10
	v_add_f32_e32 v15, v26, v5
	;; [unrolled: 1-line block ×5, first 2 shown]
	v_fmamk_f32 v23, v14, 0x3f5db3d7, v29
	v_fmac_f32_e32 v29, 0xbf5db3d7, v14
	v_fmamk_f32 v24, v17, 0xbf5db3d7, v30
	v_fmac_f32_e32 v30, 0x3f5db3d7, v17
	v_fmamk_f32 v14, v20, 0x3f5db3d7, v54
	v_fmamk_f32 v17, v3, 0xbf5db3d7, v55
	v_fmac_f32_e32 v54, 0xbf5db3d7, v20
	v_fmac_f32_e32 v55, 0x3f5db3d7, v3
	v_fma_f32 v19, -0.5, v28, v46
	v_add_f32_e32 v6, v12, v13
	v_sub_f32_e32 v8, v12, v13
	v_fmamk_f32 v20, v1, 0xbf5db3d7, v47
	v_fmac_f32_e32 v47, 0x3f5db3d7, v1
	v_fmamk_f32 v1, v56, 0x3f5db3d7, v27
	v_fmamk_f32 v12, v11, 0xbf5db3d7, v2
	v_fmac_f32_e32 v27, 0xbf5db3d7, v56
	v_fmac_f32_e32 v2, 0x3f5db3d7, v11
	v_add_f32_e32 v5, v9, v10
	v_sub_f32_e32 v7, v9, v10
	v_add_f32_e32 v9, v15, v4
	v_add_f32_e32 v10, v16, v18
	v_sub_f32_e32 v25, v15, v4
	v_sub_f32_e32 v26, v16, v18
	v_mul_f32_e32 v4, 0x3f5db3d7, v17
	v_mul_f32_e32 v18, 0xbf5db3d7, v14
	v_mul_f32_e32 v16, -0.5, v54
	v_mul_f32_e32 v28, -0.5, v55
	v_fmamk_f32 v3, v44, 0x3f5db3d7, v19
	v_fmac_f32_e32 v19, 0xbf5db3d7, v44
	v_mul_f32_e32 v44, 0x3f5db3d7, v12
	v_mul_f32_e32 v46, 0xbf5db3d7, v1
	v_mul_f32_e32 v45, -0.5, v27
	v_mul_f32_e32 v48, -0.5, v2
	v_fmac_f32_e32 v4, 0.5, v14
	v_fmac_f32_e32 v18, 0.5, v17
	v_fmac_f32_e32 v16, 0x3f5db3d7, v55
	v_fmac_f32_e32 v28, 0xbf5db3d7, v54
	v_fmac_f32_e32 v44, 0.5, v1
	v_fmac_f32_e32 v46, 0.5, v12
	v_fmac_f32_e32 v45, 0x3f5db3d7, v2
	v_fmac_f32_e32 v48, 0xbf5db3d7, v27
	v_add_f32_e32 v11, v23, v4
	v_add_f32_e32 v12, v24, v18
	;; [unrolled: 1-line block ×4, first 2 shown]
	v_sub_f32_e32 v15, v23, v4
	v_sub_f32_e32 v17, v29, v16
	;; [unrolled: 1-line block ×4, first 2 shown]
	v_add_f32_e32 v23, v3, v44
	v_add_f32_e32 v24, v20, v46
	v_add_f32_e32 v27, v19, v45
	v_add_f32_e32 v28, v47, v48
	v_sub_f32_e32 v1, v3, v44
	v_sub_f32_e32 v3, v19, v45
	;; [unrolled: 1-line block ×4, first 2 shown]
	ds_write2_b64 v50, v[5:6], v[11:12] offset1:20
	ds_write2_b64 v50, v[13:14], v[7:8] offset0:40 offset1:60
	ds_write2_b64 v50, v[15:16], v[17:18] offset0:80 offset1:100
	ds_write2_b64 v52, v[9:10], v[23:24] offset1:20
	ds_write2_b64 v52, v[27:28], v[25:26] offset0:40 offset1:60
	ds_write2_b64 v52, v[1:2], v[3:4] offset0:80 offset1:100
	s_waitcnt lgkmcnt(0)
	s_barrier
	buffer_gl0_inv
	ds_read2_b64 v[9:12], v39 offset1:240
	ds_read2_b64 v[17:20], v51 offset1:240
	;; [unrolled: 1-line block ×3, first 2 shown]
	ds_read_b64 v[29:30], v39 offset:11520
                                        ; kill: def $vgpr5 killed $sgpr0 killed $exec
                                        ; implicit-def: $vgpr8
	s_and_saveexec_b32 s7, vcc_lo
	s_cbranch_execz .LBB0_12
; %bb.11:
	v_add_nc_u32_e32 v1, 0x1000, v39
	v_add_nc_u32_e32 v2, 0x1a80, v39
	;; [unrolled: 1-line block ×3, first 2 shown]
	ds_read_b64 v[23:24], v41
	ds_read_b64 v[27:28], v39 offset:3040
	ds_read2_b32 v[25:26], v1 offset0:216 offset1:217
	ds_read2_b64 v[1:4], v2 offset0:12 offset1:252
	ds_read2_b64 v[5:8], v5 offset0:12 offset1:252
.LBB0_12:
	s_or_b32 exec_lo, exec_lo, s7
	v_mul_lo_u16 v44, v38, 22
	v_lshrrev_b16 v56, 8, v44
	v_mul_lo_u16 v44, v56, 12
	v_and_b32_e32 v56, 0xffff, v56
	v_sub_nc_u16 v44, v38, v44
	v_and_b32_e32 v57, 0xff, v44
	v_mul_u32_u24_e32 v44, 6, v57
	v_mad_u32_u24 v56, 0x54, v56, v57
	v_lshlrev_b32_e32 v52, 3, v44
	v_mul_u32_u24_e32 v56, 0x50, v56
	s_clause 0x2
	global_load_dwordx4 v[44:47], v52, s[12:13] offset:80
	global_load_dwordx4 v[48:51], v52, s[12:13] offset:96
	;; [unrolled: 1-line block ×3, first 2 shown]
	v_add3_u32 v43, 0, v56, v43
	s_waitcnt vmcnt(0) lgkmcnt(0)
	s_barrier
	buffer_gl0_inv
	v_add_nc_u32_e32 v56, 0x400, v43
	v_add_nc_u32_e32 v57, 0xc00, v43
	v_mul_f32_e32 v58, v45, v12
	v_mul_f32_e32 v45, v45, v11
	;; [unrolled: 1-line block ×12, first 2 shown]
	v_fma_f32 v11, v44, v11, -v58
	v_fmac_f32_e32 v45, v44, v12
	v_fma_f32 v12, v46, v17, -v59
	v_fmac_f32_e32 v47, v46, v18
	;; [unrolled: 2-line block ×3, first 2 shown]
	v_fmac_f32_e32 v51, v50, v14
	v_fma_f32 v14, v52, v15, -v62
	v_fmac_f32_e32 v53, v52, v16
	v_fma_f32 v17, v48, v19, -v60
	;; [unrolled: 2-line block ×3, first 2 shown]
	v_add_f32_e32 v15, v11, v18
	v_add_f32_e32 v16, v45, v55
	;; [unrolled: 1-line block ×4, first 2 shown]
	v_sub_f32_e32 v11, v11, v18
	v_sub_f32_e32 v18, v45, v55
	;; [unrolled: 1-line block ×4, first 2 shown]
	v_add_f32_e32 v29, v17, v13
	v_add_f32_e32 v30, v49, v51
	v_sub_f32_e32 v13, v13, v17
	v_sub_f32_e32 v17, v51, v49
	v_add_f32_e32 v44, v19, v15
	v_add_f32_e32 v45, v20, v16
	v_sub_f32_e32 v46, v19, v15
	v_sub_f32_e32 v47, v20, v16
	;; [unrolled: 1-line block ×6, first 2 shown]
	v_add_f32_e32 v48, v13, v12
	v_add_f32_e32 v49, v17, v14
	v_sub_f32_e32 v50, v13, v12
	v_sub_f32_e32 v51, v17, v14
	;; [unrolled: 1-line block ×3, first 2 shown]
	v_add_f32_e32 v29, v29, v44
	v_add_f32_e32 v30, v30, v45
	v_sub_f32_e32 v14, v14, v18
	v_sub_f32_e32 v13, v11, v13
	;; [unrolled: 1-line block ×3, first 2 shown]
	v_add_f32_e32 v11, v48, v11
	v_add_f32_e32 v18, v49, v18
	v_mul_f32_e32 v15, 0x3f4a47b2, v15
	v_mul_f32_e32 v16, 0x3f4a47b2, v16
	;; [unrolled: 1-line block ×7, first 2 shown]
	v_add_f32_e32 v9, v29, v9
	v_add_f32_e32 v10, v30, v10
	v_mul_f32_e32 v51, 0x3f5ff5aa, v14
	v_fmamk_f32 v19, v19, 0x3d64c772, v15
	v_fmamk_f32 v20, v20, 0x3d64c772, v16
	v_fma_f32 v44, 0x3f3bfb3b, v46, -v44
	v_fma_f32 v45, 0x3f3bfb3b, v47, -v45
	;; [unrolled: 1-line block ×4, first 2 shown]
	v_fmamk_f32 v46, v13, 0x3eae86e6, v48
	v_fmamk_f32 v47, v17, 0x3eae86e6, v49
	v_fma_f32 v48, 0x3f5ff5aa, v12, -v48
	v_fma_f32 v50, 0xbeae86e6, v13, -v50
	v_fmamk_f32 v12, v29, 0xbf955555, v9
	v_fmamk_f32 v13, v30, 0xbf955555, v10
	v_fma_f32 v49, 0x3f5ff5aa, v14, -v49
	v_fma_f32 v51, 0xbeae86e6, v17, -v51
	v_fmac_f32_e32 v46, 0x3ee1c552, v11
	v_fmac_f32_e32 v47, 0x3ee1c552, v18
	v_add_f32_e32 v29, v19, v12
	v_add_f32_e32 v30, v20, v13
	v_fmac_f32_e32 v48, 0x3ee1c552, v11
	v_fmac_f32_e32 v49, 0x3ee1c552, v18
	;; [unrolled: 1-line block ×4, first 2 shown]
	v_add_f32_e32 v17, v44, v12
	v_add_f32_e32 v19, v15, v12
	;; [unrolled: 1-line block ×5, first 2 shown]
	v_sub_f32_e32 v12, v30, v46
	v_add_f32_e32 v13, v51, v19
	v_sub_f32_e32 v14, v20, v50
	v_sub_f32_e32 v15, v17, v49
	v_add_f32_e32 v16, v48, v18
	v_add_f32_e32 v17, v49, v17
	v_sub_f32_e32 v18, v18, v48
	v_sub_f32_e32 v19, v19, v51
	v_add_f32_e32 v20, v50, v20
	v_sub_f32_e32 v29, v29, v47
	v_add_f32_e32 v30, v46, v30
	ds_write2_b64 v43, v[9:10], v[11:12] offset1:120
	ds_write2_b64 v56, v[13:14], v[15:16] offset0:112 offset1:232
	ds_write2_b64 v57, v[17:18], v[19:20] offset0:96 offset1:216
	ds_write_b64 v43, v[29:30] offset:5760
	s_and_saveexec_b32 s7, vcc_lo
	s_cbranch_execz .LBB0_14
; %bb.13:
	v_and_b32_e32 v9, 0xff, v31
	v_mov_b32_e32 v10, 6
	v_mov_b32_e32 v30, 3
	;; [unrolled: 1-line block ×3, first 2 shown]
	v_mul_lo_u16 v9, 0xab, v9
	v_lshlrev_b32_sdwa v30, v30, v32 dst_sel:DWORD dst_unused:UNUSED_PAD src0_sel:DWORD src1_sel:WORD_0
	v_lshrrev_b16 v9, 11, v9
	v_mul_lo_u16 v9, v9, 12
	v_sub_nc_u16 v29, v31, v9
	v_mul_u32_u24_sdwa v9, v29, v10 dst_sel:DWORD dst_unused:UNUSED_PAD src0_sel:BYTE_0 src1_sel:DWORD
	v_mul_u32_u24_sdwa v29, v29, v43 dst_sel:DWORD dst_unused:UNUSED_PAD src0_sel:BYTE_0 src1_sel:DWORD
	v_lshlrev_b32_e32 v17, 3, v9
	v_add3_u32 v29, 0, v29, v30
	s_clause 0x2
	global_load_dwordx4 v[9:12], v17, s[12:13] offset:80
	global_load_dwordx4 v[13:16], v17, s[12:13] offset:112
	;; [unrolled: 1-line block ×3, first 2 shown]
	v_add_nc_u32_e32 v30, 0x1800, v29
	v_add_nc_u32_e32 v43, 0x2000, v29
	;; [unrolled: 1-line block ×3, first 2 shown]
	s_waitcnt vmcnt(2)
	v_mul_f32_e32 v45, v28, v10
	s_waitcnt vmcnt(1)
	v_mul_f32_e32 v46, v8, v16
	;; [unrolled: 2-line block ×3, first 2 shown]
	v_mul_f32_e32 v48, v2, v18
	v_mul_f32_e32 v49, v26, v12
	;; [unrolled: 1-line block ×9, first 2 shown]
	v_fma_f32 v27, v27, v9, -v45
	v_fma_f32 v7, v7, v15, -v46
	;; [unrolled: 1-line block ×6, first 2 shown]
	v_fmac_f32_e32 v16, v8, v15
	v_fmac_f32_e32 v10, v28, v9
	;; [unrolled: 1-line block ×6, first 2 shown]
	v_sub_f32_e32 v2, v27, v7
	v_sub_f32_e32 v4, v3, v1
	v_add_f32_e32 v8, v10, v16
	v_add_f32_e32 v9, v18, v20
	v_add_f32_e32 v11, v12, v14
	v_add_f32_e32 v7, v27, v7
	v_add_f32_e32 v1, v1, v3
	v_add_f32_e32 v3, v25, v5
	v_sub_f32_e32 v6, v25, v5
	v_sub_f32_e32 v5, v10, v16
	;; [unrolled: 1-line block ×5, first 2 shown]
	v_add_f32_e32 v17, v11, v8
	v_sub_f32_e32 v18, v7, v1
	v_add_f32_e32 v20, v3, v7
	v_sub_f32_e32 v13, v2, v4
	v_sub_f32_e32 v14, v4, v6
	v_add_f32_e32 v4, v4, v6
	v_sub_f32_e32 v16, v9, v11
	v_sub_f32_e32 v19, v1, v3
	;; [unrolled: 1-line block ×4, first 2 shown]
	v_add_f32_e32 v10, v10, v12
	v_sub_f32_e32 v6, v6, v2
	v_sub_f32_e32 v3, v3, v7
	;; [unrolled: 1-line block ×3, first 2 shown]
	v_mul_f32_e32 v12, 0x3f4a47b2, v15
	v_add_f32_e32 v9, v9, v17
	v_mul_f32_e32 v15, 0x3f4a47b2, v18
	v_add_f32_e32 v18, v1, v20
	v_sub_f32_e32 v8, v11, v8
	v_mul_f32_e32 v11, 0xbf08b237, v14
	v_add_f32_e32 v4, v4, v2
	v_mul_f32_e32 v20, 0xbf08b237, v26
	v_add_f32_e32 v5, v10, v5
	;; [unrolled: 2-line block ×3, first 2 shown]
	v_add_f32_e32 v1, v23, v18
	v_mul_f32_e32 v14, 0x3d64c772, v16
	v_mul_f32_e32 v17, 0x3d64c772, v19
	;; [unrolled: 1-line block ×3, first 2 shown]
	v_fmamk_f32 v27, v13, 0x3eae86e6, v11
	v_fmamk_f32 v16, v16, 0x3d64c772, v12
	;; [unrolled: 1-line block ×4, first 2 shown]
	v_fma_f32 v13, 0xbeae86e6, v13, -v10
	v_fma_f32 v10, 0xbf3bfb3b, v8, -v12
	;; [unrolled: 1-line block ×3, first 2 shown]
	v_fmamk_f32 v6, v9, 0xbf955555, v2
	v_fmamk_f32 v9, v18, 0xbf955555, v1
	v_fma_f32 v12, 0xbf3bfb3b, v3, -v15
	v_fma_f32 v15, 0xbeae86e6, v25, -v26
	;; [unrolled: 1-line block ×5, first 2 shown]
	v_fmac_f32_e32 v27, 0x3ee1c552, v4
	v_fmac_f32_e32 v23, 0x3ee1c552, v5
	;; [unrolled: 1-line block ×3, first 2 shown]
	v_add_f32_e32 v14, v16, v6
	v_add_f32_e32 v16, v19, v9
	;; [unrolled: 1-line block ×3, first 2 shown]
	v_fmac_f32_e32 v15, 0x3ee1c552, v5
	v_fmac_f32_e32 v11, 0x3ee1c552, v4
	;; [unrolled: 1-line block ×3, first 2 shown]
	v_add_f32_e32 v18, v12, v9
	v_add_f32_e32 v10, v8, v6
	;; [unrolled: 1-line block ×5, first 2 shown]
	v_sub_f32_e32 v12, v17, v13
	v_sub_f32_e32 v14, v14, v27
	v_add_f32_e32 v13, v23, v16
	v_sub_f32_e32 v8, v10, v11
	v_add_f32_e32 v10, v11, v10
	;; [unrolled: 2-line block ×4, first 2 shown]
	v_sub_f32_e32 v3, v16, v23
	ds_write2_b64 v30, v[1:2], v[13:14] offset0:72 offset1:192
	ds_write2_b64 v43, v[11:12], v[9:10] offset0:56 offset1:176
	ds_write2_b64 v44, v[7:8], v[5:6] offset0:40 offset1:160
	ds_write_b64 v29, v[3:4] offset:12480
.LBB0_14:
	s_or_b32 exec_lo, exec_lo, s7
	v_cmp_gt_u64_e32 vcc_lo, s[14:15], v[21:22]
	s_waitcnt lgkmcnt(0)
	s_barrier
	buffer_gl0_inv
	s_or_b32 s6, s6, vcc_lo
	s_and_saveexec_b32 s7, s6
	s_cbranch_execz .LBB0_16
; %bb.15:
	v_subrev_nc_u32_e32 v1, 42, v38
	v_mov_b32_e32 v2, 0
	v_cmp_gt_u32_e32 vcc_lo, 0x1a4, v0
	v_lshrrev_b16 v5, 2, v37
	v_add_nc_u32_e32 v10, 0xffffffba, v38
	v_subrev_nc_u32_e32 v11, 28, v38
	v_mov_b32_e32 v4, v2
	v_cndmask_b32_e32 v3, v1, v35, vcc_lo
	v_subrev_nc_u32_e32 v1, 56, v38
	v_cmp_gt_u32_e32 vcc_lo, 0x230, v0
	v_and_b32_e32 v8, 63, v5
	v_mov_b32_e32 v5, v2
	v_lshlrev_b64 v[6:7], 3, v[3:4]
	v_mov_b32_e32 v23, v2
	v_cndmask_b32_e32 v4, v1, v34, vcc_lo
	v_mul_lo_u16 v1, v8, 49
	s_load_dwordx2 s[4:5], s[4:5], 0x8
	v_mov_b32_e32 v55, 3
	v_add_co_u32 v6, vcc_lo, s12, v6
	v_add_co_ci_u32_e32 v7, vcc_lo, s13, v7, vcc_lo
	v_lshlrev_b64 v[8:9], 3, v[4:5]
	v_cmp_gt_u32_e32 vcc_lo, 0x2bc, v0
	v_lshrrev_b16 v12, 10, v1
	global_load_dwordx2 v[18:19], v[6:7], off offset:656
	v_add_nc_u32_e32 v1, 0xffffffac, v38
	v_mov_b32_e32 v6, v2
	v_cndmask_b32_e32 v5, v10, v31, vcc_lo
	v_add_co_u32 v7, vcc_lo, s12, v8
	v_add_co_ci_u32_e32 v8, vcc_lo, s13, v9, vcc_lo
	v_cmp_gt_u32_e32 vcc_lo, 0x348, v0
	v_lshlrev_b64 v[9:10], 3, v[5:6]
	v_mul_lo_u16 v12, 0x54, v12
	global_load_dwordx2 v[24:25], v[7:8], off offset:656
	v_add_nc_u32_e32 v14, 0x2a00, v39
	v_cndmask_b32_e32 v22, v1, v38, vcc_lo
	v_cmp_gt_u32_e32 vcc_lo, 0x118, v0
	v_mul_lo_u32 v38, v21, v3
	v_mul_lo_u32 v56, v21, v4
	v_add_nc_u32_e32 v30, 0x54, v3
	v_lshlrev_b64 v[6:7], 3, v[22:23]
	v_cndmask_b32_e32 v1, v11, v36, vcc_lo
	v_add_co_u32 v8, vcc_lo, s12, v9
	v_add_co_ci_u32_e32 v9, vcc_lo, s13, v10, vcc_lo
	v_add_co_u32 v6, vcc_lo, s12, v6
	v_lshlrev_b64 v[10:11], 3, v[1:2]
	v_add_co_ci_u32_e32 v7, vcc_lo, s13, v7, vcc_lo
	v_sub_nc_u16 v2, v37, v12
	s_clause 0x1
	global_load_dwordx2 v[26:27], v[8:9], off offset:656
	global_load_dwordx2 v[28:29], v[6:7], off offset:656
	v_add_co_u32 v6, vcc_lo, s12, v10
	v_mul_lo_u32 v20, v21, v1
	v_add_co_ci_u32_e32 v7, vcc_lo, s13, v11, vcc_lo
	v_and_b32_e32 v2, 0xff, v2
	v_bfe_u32 v8, v38, 8, 8
	v_add_nc_u32_e32 v10, 0x1800, v39
	global_load_dwordx2 v[43:44], v[6:7], off offset:656
	v_add_nc_u32_e32 v23, 0x54, v1
	v_lshlrev_b32_e32 v6, 3, v2
	v_bfe_u32 v7, v20, 8, 8
	v_mul_lo_u32 v57, v21, v5
	v_mul_lo_u32 v59, v21, v22
	;; [unrolled: 1-line block ×3, first 2 shown]
	global_load_dwordx2 v[45:46], v6, s[12:13] offset:656
	v_lshlrev_b32_sdwa v6, v55, v20 dst_sel:DWORD dst_unused:UNUSED_PAD src0_sel:DWORD src1_sel:BYTE_0
	v_lshl_or_b32 v7, v7, 3, 0x800
	s_waitcnt lgkmcnt(0)
	s_clause 0x1
	global_load_dwordx2 v[47:48], v6, s[4:5]
	global_load_dwordx2 v[49:50], v7, s[4:5]
	v_lshlrev_b32_sdwa v6, v55, v38 dst_sel:DWORD dst_unused:UNUSED_PAD src0_sel:DWORD src1_sel:BYTE_0
	v_lshl_or_b32 v7, v8, 3, 0x800
	s_clause 0x1
	global_load_dwordx2 v[51:52], v6, s[4:5]
	global_load_dwordx2 v[53:54], v7, s[4:5]
	v_add_nc_u32_e32 v6, 0x2000, v39
	ds_read2_b64 v[6:9], v6 offset0:96 offset1:236
	ds_read2_b64 v[10:13], v10 offset0:72 offset1:212
	;; [unrolled: 1-line block ×3, first 2 shown]
	v_bfe_u32 v23, v56, 8, 8
	v_mul_lo_u32 v61, v21, v30
	v_lshlrev_b32_sdwa v30, v55, v56 dst_sel:DWORD dst_unused:UNUSED_PAD src0_sel:DWORD src1_sel:BYTE_0
	v_bfe_u32 v62, v57, 8, 8
	v_bfe_u32 v64, v59, 8, 8
	v_lshl_or_b32 v23, v23, 3, 0x800
	v_add_nc_u32_e32 v58, 0x54, v4
	v_lshlrev_b32_sdwa v63, v55, v57 dst_sel:DWORD dst_unused:UNUSED_PAD src0_sel:DWORD src1_sel:BYTE_0
	v_lshlrev_b32_sdwa v65, v55, v59 dst_sel:DWORD dst_unused:UNUSED_PAD src0_sel:DWORD src1_sel:BYTE_0
	v_lshl_or_b32 v62, v62, 3, 0x800
	v_lshl_or_b32 v64, v64, 3, 0x800
	v_mul_lo_u32 v58, v21, v58
	v_cmp_lt_u32_e32 vcc_lo, 0x347, v0
	v_cndmask_b32_e64 v0, 0, 0xa8, vcc_lo
	s_waitcnt vmcnt(9) lgkmcnt(2)
	v_mul_f32_e32 v66, v19, v8
	v_mul_f32_e32 v19, v19, v9
	v_fmac_f32_e32 v66, v18, v9
	v_fma_f32 v68, v18, v8, -v19
	s_clause 0x1
	global_load_dwordx2 v[8:9], v30, s[4:5]
	global_load_dwordx2 v[18:19], v23, s[4:5]
	v_lshlrev_b32_sdwa v23, v55, v60 dst_sel:DWORD dst_unused:UNUSED_PAD src0_sel:DWORD src1_sel:BYTE_0
	s_waitcnt vmcnt(10)
	v_mul_f32_e32 v67, v25, v6
	v_mul_f32_e32 v25, v25, v7
	v_fmac_f32_e32 v67, v24, v7
	v_fma_f32 v69, v24, v6, -v25
	v_bfe_u32 v24, v60, 8, 8
	v_lshlrev_b32_sdwa v25, v55, v61 dst_sel:DWORD dst_unused:UNUSED_PAD src0_sel:DWORD src1_sel:BYTE_0
	v_lshl_or_b32 v24, v24, 3, 0x800
	s_waitcnt vmcnt(9) lgkmcnt(1)
	v_mul_f32_e32 v6, v27, v13
	s_waitcnt vmcnt(8)
	v_mul_f32_e32 v71, v29, v10
	v_mul_f32_e32 v7, v29, v11
	;; [unrolled: 1-line block ×3, first 2 shown]
	v_bfe_u32 v29, v58, 8, 8
	v_fma_f32 v72, v26, v12, -v6
	v_fmac_f32_e32 v71, v28, v11
	v_fma_f32 v74, v28, v10, -v7
	s_clause 0x1
	global_load_dwordx2 v[6:7], v63, s[4:5]
	global_load_dwordx2 v[10:11], v62, s[4:5]
	v_fmac_f32_e32 v70, v26, v13
	s_waitcnt vmcnt(9) lgkmcnt(0)
	v_mul_f32_e32 v73, v44, v14
	v_mul_f32_e32 v12, v44, v15
	v_bfe_u32 v26, v61, 8, 8
	v_lshl_or_b32 v44, v29, 3, 0x800
	v_fmac_f32_e32 v73, v43, v15
	s_waitcnt vmcnt(8)
	v_mul_f32_e32 v62, v16, v46
	v_mul_f32_e32 v27, v17, v46
	v_fma_f32 v46, v43, v14, -v12
	s_clause 0x1
	global_load_dwordx2 v[12:13], v65, s[4:5]
	global_load_dwordx2 v[14:15], v64, s[4:5]
	v_lshl_or_b32 v28, v26, 3, 0x800
	v_fmac_f32_e32 v62, v17, v45
	v_fma_f32 v45, v16, v45, -v27
	s_waitcnt vmcnt(8)
	v_mul_f32_e32 v27, v48, v50
	s_clause 0x1
	global_load_dwordx2 v[16:17], v23, s[4:5]
	global_load_dwordx2 v[23:24], v24, s[4:5]
	v_mul_f32_e32 v50, v47, v50
	v_lshlrev_b32_sdwa v43, v55, v58 dst_sel:DWORD dst_unused:UNUSED_PAD src0_sel:DWORD src1_sel:BYTE_0
	v_fma_f32 v47, v47, v49, -v27
	s_clause 0x1
	global_load_dwordx2 v[25:26], v25, s[4:5]
	global_load_dwordx2 v[27:28], v28, s[4:5]
	s_waitcnt vmcnt(10)
	v_mul_f32_e32 v30, v52, v54
	v_fmac_f32_e32 v50, v48, v49
	v_mul_f32_e32 v48, v51, v54
	v_fma_f32 v49, v51, v53, -v30
	s_clause 0x1
	global_load_dwordx2 v[29:30], v43, s[4:5]
	global_load_dwordx2 v[43:44], v44, s[4:5]
	v_fmac_f32_e32 v48, v52, v53
	v_bfe_u32 v53, v58, 16, 8
	v_lshl_or_b32 v53, v53, 3, 0x1000
	s_waitcnt vmcnt(10)
	v_mul_f32_e32 v51, v9, v19
	v_mul_f32_e32 v52, v8, v19
	v_bfe_u32 v19, v56, 16, 8
	v_fma_f32 v51, v8, v18, -v51
	v_fmac_f32_e32 v52, v9, v18
	v_add_nc_u32_e32 v8, 0x54, v5
	v_bfe_u32 v9, v20, 16, 8
	v_bfe_u32 v18, v38, 16, 8
	;; [unrolled: 1-line block ×3, first 2 shown]
	v_lshl_or_b32 v19, v19, 3, 0x1000
	v_mul_lo_u32 v20, v21, v8
	v_lshl_or_b32 v8, v9, 3, 0x1000
	v_bfe_u32 v9, v60, 16, 8
	v_lshl_or_b32 v18, v18, 3, 0x1000
	v_lshl_or_b32 v38, v38, 3, 0x1000
	v_sub_nc_u32_e32 v5, v31, v5
	v_lshl_or_b32 v9, v9, 3, 0x1000
	v_add_nc_u32_e32 v5, v5, v31
	s_waitcnt vmcnt(8)
	v_mul_f32_e32 v54, v7, v11
	v_mul_f32_e32 v56, v6, v11
	v_fma_f32 v54, v6, v10, -v54
	v_fmac_f32_e32 v56, v7, v10
	s_clause 0x1
	global_load_dwordx2 v[6:7], v8, s[4:5]
	global_load_dwordx2 v[8:9], v9, s[4:5]
	s_waitcnt vmcnt(8)
	v_mul_f32_e32 v11, v13, v15
	v_mul_f32_e32 v58, v12, v15
	v_fma_f32 v60, v12, v14, -v11
	v_fmac_f32_e32 v58, v13, v14
	s_waitcnt vmcnt(6)
	v_mul_f32_e32 v14, v17, v24
	v_mul_f32_e32 v61, v16, v24
	s_clause 0x1
	global_load_dwordx2 v[10:11], v18, s[4:5]
	global_load_dwordx2 v[12:13], v38, s[4:5]
	s_waitcnt vmcnt(6)
	v_mul_f32_e32 v18, v26, v28
	v_mul_f32_e32 v63, v25, v28
	v_fma_f32 v38, v16, v23, -v14
	v_fmac_f32_e32 v61, v17, v23
	v_bfe_u32 v23, v20, 8, 8
	s_clause 0x1
	global_load_dwordx2 v[14:15], v19, s[4:5]
	global_load_dwordx2 v[16:17], v53, s[4:5]
	v_fma_f32 v53, v25, v27, -v18
	s_waitcnt vmcnt(6)
	v_mul_f32_e32 v18, v30, v44
	v_lshlrev_b32_sdwa v19, v55, v20 dst_sel:DWORD dst_unused:UNUSED_PAD src0_sel:DWORD src1_sel:BYTE_0
	v_lshl_or_b32 v23, v23, 3, 0x800
	v_bfe_u32 v25, v57, 16, 8
	v_bfe_u32 v20, v20, 16, 8
	v_fma_f32 v65, v29, v43, -v18
	s_clause 0x1
	global_load_dwordx2 v[18:19], v19, s[4:5]
	global_load_dwordx2 v[23:24], v23, s[4:5]
	v_fmac_f32_e32 v63, v26, v27
	v_lshl_or_b32 v25, v25, 3, 0x1000
	v_lshl_or_b32 v20, v20, 3, 0x1000
	s_clause 0x1
	global_load_dwordx2 v[25:26], v25, s[4:5]
	global_load_dwordx2 v[27:28], v20, s[4:5]
	v_mul_f32_e32 v64, v29, v44
	v_fmac_f32_e32 v64, v30, v43
	s_waitcnt vmcnt(8)
	v_mul_f32_e32 v78, v38, v9
	v_fmac_f32_e32 v78, v8, v61
	s_waitcnt vmcnt(2)
	v_mul_f32_e32 v20, v19, v24
	v_mul_f32_e32 v75, v18, v24
	v_fma_f32 v57, v18, v23, -v20
	v_add_nc_u32_e32 v18, 0x54, v22
	v_fmac_f32_e32 v75, v19, v23
	v_bfe_u32 v20, v59, 16, 8
	v_mul_lo_u32 v18, v21, v18
	v_lshl_or_b32 v20, v20, 3, 0x1000
	v_bfe_u32 v19, v18, 8, 8
	v_bfe_u32 v23, v18, 16, 8
	v_lshlrev_b32_sdwa v18, v55, v18 dst_sel:DWORD dst_unused:UNUSED_PAD src0_sel:DWORD src1_sel:BYTE_0
	v_lshl_or_b32 v24, v19, 3, 0x800
	v_lshl_or_b32 v43, v23, 3, 0x1000
	s_clause 0x3
	global_load_dwordx2 v[18:19], v18, s[4:5]
	global_load_dwordx2 v[23:24], v24, s[4:5]
	;; [unrolled: 1-line block ×4, first 2 shown]
	s_waitcnt vmcnt(2)
	v_mul_f32_e32 v20, v19, v24
	v_mul_f32_e32 v24, v18, v24
	v_fma_f32 v59, v18, v23, -v20
	v_mul_f32_e32 v18, v50, v7
	v_fmac_f32_e32 v24, v19, v23
	v_fma_f32 v76, v6, v47, -v18
	v_mul_f32_e32 v47, v47, v7
	v_mul_lo_u32 v18, v21, v2
	s_waitcnt vmcnt(0)
	v_mul_f32_e32 v23, v24, v44
	v_mul_f32_e32 v44, v59, v44
	v_fmac_f32_e32 v47, v6, v50
	v_mul_f32_e32 v6, v48, v11
	v_fma_f32 v59, v43, v59, -v23
	v_fmac_f32_e32 v44, v43, v24
	v_bfe_u32 v7, v18, 8, 8
	v_fma_f32 v50, v10, v49, -v6
	v_mul_f32_e32 v49, v49, v11
	v_mul_f32_e32 v6, v52, v15
	v_fmac_f32_e32 v49, v10, v48
	v_fma_f32 v48, v14, v51, -v6
	v_mul_f32_e32 v51, v51, v15
	v_mul_f32_e32 v6, v56, v26
	v_lshl_or_b32 v10, v7, 3, 0x800
	v_mul_f32_e32 v15, v58, v30
	v_fmac_f32_e32 v51, v14, v52
	v_mul_f32_e32 v52, v54, v26
	v_fma_f32 v54, v25, v54, -v6
	v_lshlrev_b32_sdwa v6, v55, v18 dst_sel:DWORD dst_unused:UNUSED_PAD src0_sel:DWORD src1_sel:BYTE_0
	s_clause 0x1
	global_load_dwordx2 v[6:7], v6, s[4:5]
	global_load_dwordx2 v[10:11], v10, s[4:5]
	v_add_nc_u32_e32 v14, 0x54, v2
	v_fmac_f32_e32 v52, v25, v56
	v_mul_f32_e32 v56, v60, v30
	v_fma_f32 v60, v29, v60, -v15
	v_bfe_u32 v18, v18, 16, 8
	v_mul_lo_u32 v14, v21, v14
	v_add_nc_u32_e32 v30, v22, v0
	v_fmac_f32_e32 v56, v29, v58
	v_lshlrev_b32_sdwa v25, v55, v32 dst_sel:DWORD dst_unused:UNUSED_PAD src0_sel:DWORD src1_sel:WORD_0
	v_lshl_or_b32 v18, v18, 3, 0x1000
	v_mul_f32_e32 v32, v65, v17
	v_mul_f32_e32 v21, v75, v28
	v_mul_i32_i24_e32 v26, 0x50, v37
	v_bfe_u32 v15, v14, 8, 8
	v_sub_nc_u32_e32 v2, v37, v2
	v_fmac_f32_e32 v32, v16, v64
	v_add3_u32 v29, 0, v26, v25
	v_lshl_or_b32 v15, v15, 3, 0x800
	s_waitcnt vmcnt(0)
	v_mul_f32_e32 v19, v7, v11
	v_mul_f32_e32 v58, v6, v11
	v_lshlrev_b32_sdwa v11, v55, v14 dst_sel:DWORD dst_unused:UNUSED_PAD src0_sel:DWORD src1_sel:BYTE_0
	v_bfe_u32 v14, v14, 16, 8
	v_mul_f32_e32 v55, v57, v28
	v_fma_f32 v77, v6, v10, -v19
	v_fmac_f32_e32 v58, v7, v10
	s_clause 0x1
	global_load_dwordx2 v[6:7], v11, s[4:5]
	global_load_dwordx2 v[10:11], v15, s[4:5]
	v_mul_f32_e32 v15, v61, v9
	v_lshl_or_b32 v9, v14, 3, 0x1000
	ds_read_b32 v22, v42
	v_fma_f32 v57, v27, v57, -v21
	v_fmac_f32_e32 v55, v27, v75
	v_fma_f32 v38, v8, v38, -v15
	s_clause 0x1
	global_load_dwordx2 v[14:15], v18, s[4:5]
	global_load_dwordx2 v[8:9], v9, s[4:5]
	v_mad_u64_u32 v[18:19], null, s0, v33, 0
	v_mov_b32_e32 v0, v19
	v_mad_u64_u32 v[19:20], null, s1, v33, v[0:1]
	v_mul_f32_e32 v0, v63, v13
	v_mul_f32_e32 v20, v64, v17
	s_lshl_b64 s[0:1], s[2:3], 3
	s_add_u32 s0, s10, s0
	v_fma_f32 v61, v12, v53, -v0
	v_mul_f32_e32 v53, v53, v13
	v_mul_i32_i24_e32 v0, 0x50, v35
	s_addc_u32 s1, s11, s1
	v_fmac_f32_e32 v53, v12, v63
	ds_read_b64 v[12:13], v42
	v_add3_u32 v0, 0, v0, v25
	v_fma_f32 v42, v16, v65, -v20
	ds_read_b64 v[16:17], v41
	ds_read_b32 v33, v41
	v_add_nc_u32_e32 v65, 0x54, v30
	ds_read_b64 v[20:21], v0
	s_waitcnt lgkmcnt(3)
	v_sub_f32_e32 v63, v13, v73
	v_sub_f32_e32 v46, v12, v46
	v_fma_f32 v28, v13, 2.0, -v63
	ds_read_b64 v[12:13], v40
	ds_read_b32 v40, v40
	ds_read_b32 v41, v0
	v_fma_f32 v0, v22, 2.0, -v46
	v_mad_u64_u32 v[22:23], null, s8, v30, 0
	v_mul_f32_e32 v24, v28, v47
	ds_read_b64 v[26:27], v39
	s_waitcnt lgkmcnt(4)
	v_sub_f32_e32 v64, v21, v66
	v_mul_f32_e32 v25, v0, v47
	v_fma_f32 v24, v0, v76, -v24
	v_mov_b32_e32 v0, v23
	v_sub_f32_e32 v23, v20, v68
	v_fma_f32 v43, v21, 2.0, -v64
	ds_read_b64 v[20:21], v29
	ds_read_b32 v39, v39
	v_fmac_f32_e32 v25, v28, v76
	v_mad_u64_u32 v[28:29], null, s9, v30, v[0:1]
	s_waitcnt lgkmcnt(5)
	v_sub_f32_e32 v0, v13, v67
	v_sub_f32_e32 v66, v12, v69
	;; [unrolled: 1-line block ×3, first 2 shown]
	s_waitcnt lgkmcnt(3)
	v_fma_f32 v12, v41, 2.0, -v23
	v_mul_f32_e32 v30, v43, v49
	v_fma_f32 v29, v13, 2.0, -v0
	v_sub_f32_e32 v68, v16, v72
	v_fma_f32 v40, v40, 2.0, -v66
	v_fma_f32 v41, v17, 2.0, -v67
	v_mul_f32_e32 v13, v12, v49
	v_fma_f32 v12, v12, v50, -v30
	s_waitcnt lgkmcnt(2)
	v_sub_f32_e32 v49, v27, v71
	v_sub_f32_e32 v69, v26, v74
	v_mul_f32_e32 v30, v40, v51
	v_fma_f32 v26, v33, 2.0, -v68
	v_mul_f32_e32 v33, v29, v51
	v_fmac_f32_e32 v13, v43, v50
	v_fma_f32 v50, v27, 2.0, -v49
	s_waitcnt lgkmcnt(0)
	v_fma_f32 v51, v39, 2.0, -v69
	v_fmac_f32_e32 v30, v29, v48
	v_mul_f32_e32 v27, v26, v52
	v_mul_f32_e32 v43, v41, v52
	v_fma_f32 v29, v40, v48, -v33
	v_mul_f32_e32 v39, v46, v78
	v_mul_f32_e32 v40, v63, v78
	;; [unrolled: 1-line block ×3, first 2 shown]
	v_fmac_f32_e32 v27, v41, v54
	v_fma_f32 v26, v26, v54, -v43
	v_mul_f32_e32 v41, v23, v53
	v_fmac_f32_e32 v39, v63, v38
	v_mul_f32_e32 v43, v66, v32
	v_fma_f32 v38, v46, v38, -v40
	v_fma_f32 v40, v23, v61, -v47
	v_mul_f32_e32 v47, v69, v44
	v_mul_f32_e32 v23, v49, v44
	;; [unrolled: 1-line block ×3, first 2 shown]
	v_fmac_f32_e32 v43, v0, v42
	v_mul_f32_e32 v33, v51, v56
	v_mul_f32_e32 v48, v50, v56
	v_sub_f32_e32 v52, v21, v62
	v_sub_f32_e32 v56, v20, v45
	v_mad_u64_u32 v[16:17], null, s8, v65, 0
	v_mul_f32_e32 v46, v67, v55
	v_fma_f32 v21, v21, 2.0, -v52
	v_fma_f32 v20, v20, 2.0, -v56
	v_fma_f32 v42, v66, v42, -v32
	v_fmac_f32_e32 v33, v50, v60
	v_fma_f32 v32, v51, v60, -v48
	v_fmac_f32_e32 v47, v49, v59
	v_mul_f32_e32 v45, v68, v55
	v_fmac_f32_e32 v41, v64, v61
	v_fmac_f32_e32 v45, v67, v57
	s_waitcnt vmcnt(2)
	v_mul_f32_e32 v44, v7, v11
	v_mul_f32_e32 v11, v6, v11
	v_fma_f32 v0, v6, v10, -v44
	v_fmac_f32_e32 v11, v7, v10
	s_waitcnt vmcnt(1)
	v_mul_f32_e32 v6, v77, v15
	v_mul_f32_e32 v7, v58, v15
	v_fma_f32 v44, v68, v57, -v46
	s_waitcnt vmcnt(0)
	v_mul_f32_e32 v10, v0, v9
	v_mul_f32_e32 v9, v11, v9
	v_fmac_f32_e32 v6, v14, v58
	v_fma_f32 v46, v69, v59, -v23
	v_mov_b32_e32 v23, v28
	v_fmac_f32_e32 v10, v8, v11
	v_fma_f32 v11, v14, v77, -v7
	v_mul_f32_e32 v7, v20, v6
	v_mul_f32_e32 v6, v21, v6
	v_fma_f32 v0, v8, v0, -v9
	v_mul_f32_e32 v9, v56, v10
	v_mul_f32_e32 v8, v52, v10
	v_fmac_f32_e32 v7, v21, v11
	v_fma_f32 v6, v20, v11, -v6
	v_lshlrev_b64 v[10:11], 3, v[18:19]
	v_fmac_f32_e32 v9, v52, v0
	v_fma_f32 v8, v56, v0, -v8
	v_mov_b32_e32 v0, v17
	v_mad_u64_u32 v[18:19], null, s8, v5, 0
	v_add_co_u32 v21, vcc_lo, s0, v10
	v_add_co_ci_u32_e32 v28, vcc_lo, s1, v11, vcc_lo
	v_lshlrev_b64 v[10:11], 3, v[22:23]
	v_mad_u64_u32 v[14:15], null, s9, v65, v[0:1]
	v_add_nc_u32_e32 v20, 0x54, v5
	v_mov_b32_e32 v0, v19
	v_add_co_u32 v10, vcc_lo, v21, v10
	v_add_co_ci_u32_e32 v11, vcc_lo, v28, v11, vcc_lo
	v_mov_b32_e32 v17, v14
	v_mad_u64_u32 v[14:15], null, s8, v20, 0
	global_store_dwordx2 v[10:11], v[32:33], off
	v_lshlrev_b64 v[10:11], 3, v[16:17]
	v_mad_u64_u32 v[16:17], null, s9, v5, v[0:1]
	v_mov_b32_e32 v0, v15
	v_sub_nc_u32_e32 v15, v34, v4
	v_add_co_u32 v4, vcc_lo, v21, v10
	v_add_co_ci_u32_e32 v5, vcc_lo, v28, v11, vcc_lo
	v_mad_u64_u32 v[10:11], null, s9, v20, v[0:1]
	v_mov_b32_e32 v19, v16
	v_add_nc_u32_e32 v20, v15, v34
	global_store_dwordx2 v[4:5], v[46:47], off
	v_lshlrev_b64 v[4:5], 3, v[18:19]
	v_add_nc_u32_e32 v19, 0x54, v20
	v_mov_b32_e32 v15, v10
	v_mad_u64_u32 v[10:11], null, s8, v20, 0
	v_sub_nc_u32_e32 v18, v35, v3
	v_mad_u64_u32 v[16:17], null, s8, v19, 0
	v_add_co_u32 v3, vcc_lo, v21, v4
	v_add_co_ci_u32_e32 v4, vcc_lo, v28, v5, vcc_lo
	v_mov_b32_e32 v0, v11
	v_add_nc_u32_e32 v22, v18, v35
	v_mov_b32_e32 v5, v17
	v_lshlrev_b64 v[14:15], 3, v[14:15]
	global_store_dwordx2 v[3:4], v[26:27], off
	v_mad_u64_u32 v[17:18], null, s9, v20, v[0:1]
	v_mad_u64_u32 v[18:19], null, s9, v19, v[5:6]
	;; [unrolled: 1-line block ×3, first 2 shown]
	v_add_co_u32 v14, vcc_lo, v21, v14
	v_mov_b32_e32 v11, v17
	v_add_co_ci_u32_e32 v15, vcc_lo, v28, v15, vcc_lo
	v_mov_b32_e32 v17, v18
	v_mov_b32_e32 v0, v20
	v_lshlrev_b64 v[3:4], 3, v[10:11]
	v_add_nc_u32_e32 v5, 0x54, v22
	global_store_dwordx2 v[14:15], v[44:45], off
	v_lshlrev_b64 v[14:15], 3, v[16:17]
	v_mad_u64_u32 v[10:11], null, s9, v22, v[0:1]
	v_add_co_u32 v3, vcc_lo, v21, v3
	v_add_co_ci_u32_e32 v4, vcc_lo, v28, v4, vcc_lo
	v_add_co_u32 v14, vcc_lo, v21, v14
	v_mov_b32_e32 v20, v10
	v_mad_u64_u32 v[10:11], null, s8, v5, 0
	v_add_co_ci_u32_e32 v15, vcc_lo, v28, v15, vcc_lo
	global_store_dwordx2 v[3:4], v[29:30], off
	v_sub_nc_u32_e32 v4, v36, v1
	v_lshlrev_b64 v[0:1], 3, v[19:20]
	global_store_dwordx2 v[14:15], v[42:43], off
	v_mov_b32_e32 v3, v11
	v_add_nc_u32_e32 v17, v2, v37
	v_add_nc_u32_e32 v14, v4, v36
	v_add_co_u32 v0, vcc_lo, v21, v0
	v_mad_u64_u32 v[3:4], null, s9, v5, v[3:4]
	v_mad_u64_u32 v[4:5], null, s8, v14, 0
	v_add_co_ci_u32_e32 v1, vcc_lo, v28, v1, vcc_lo
	v_add_nc_u32_e32 v15, 0x54, v14
	v_add_nc_u32_e32 v18, 0x54, v17
	v_mov_b32_e32 v11, v3
	global_store_dwordx2 v[0:1], v[12:13], off
	v_mov_b32_e32 v2, v5
	v_mad_u64_u32 v[0:1], null, s8, v15, 0
	v_mad_u64_u32 v[12:13], null, s8, v17, 0
	;; [unrolled: 1-line block ×3, first 2 shown]
	v_lshlrev_b64 v[10:11], 3, v[10:11]
	v_mov_b32_e32 v3, v13
	v_mad_u64_u32 v[14:15], null, s9, v15, v[1:2]
	v_mad_u64_u32 v[15:16], null, s8, v18, 0
	v_mov_b32_e32 v5, v2
	v_add_co_u32 v10, vcc_lo, v21, v10
	v_mad_u64_u32 v[2:3], null, s9, v17, v[3:4]
	v_lshlrev_b64 v[4:5], 3, v[4:5]
	v_add_co_ci_u32_e32 v11, vcc_lo, v28, v11, vcc_lo
	v_mov_b32_e32 v3, v16
	v_mov_b32_e32 v1, v14
	global_store_dwordx2 v[10:11], v[40:41], off
	v_mov_b32_e32 v13, v2
	v_mad_u64_u32 v[10:11], null, s9, v18, v[3:4]
	v_lshlrev_b64 v[0:1], 3, v[0:1]
	v_add_co_u32 v2, vcc_lo, v21, v4
	v_add_co_ci_u32_e32 v3, vcc_lo, v28, v5, vcc_lo
	v_lshlrev_b64 v[4:5], 3, v[12:13]
	v_mov_b32_e32 v16, v10
	v_add_co_u32 v0, vcc_lo, v21, v0
	v_add_co_ci_u32_e32 v1, vcc_lo, v28, v1, vcc_lo
	v_lshlrev_b64 v[10:11], 3, v[15:16]
	v_add_co_u32 v4, vcc_lo, v21, v4
	v_add_co_ci_u32_e32 v5, vcc_lo, v28, v5, vcc_lo
	v_add_co_u32 v10, vcc_lo, v21, v10
	v_add_co_ci_u32_e32 v11, vcc_lo, v28, v11, vcc_lo
	global_store_dwordx2 v[2:3], v[24:25], off
	global_store_dwordx2 v[0:1], v[38:39], off
	;; [unrolled: 1-line block ×4, first 2 shown]
.LBB0_16:
	s_endpgm
	.section	.rodata,"a",@progbits
	.p2align	6, 0x0
	.amdhsa_kernel fft_rtc_fwd_len168_factors_2_6_7_2_wgs_140_tpt_14_dim2_sp_ip_CI_sbcc_twdbase8_3step_dirReg
		.amdhsa_group_segment_fixed_size 0
		.amdhsa_private_segment_fixed_size 0
		.amdhsa_kernarg_size 88
		.amdhsa_user_sgpr_count 6
		.amdhsa_user_sgpr_private_segment_buffer 1
		.amdhsa_user_sgpr_dispatch_ptr 0
		.amdhsa_user_sgpr_queue_ptr 0
		.amdhsa_user_sgpr_kernarg_segment_ptr 1
		.amdhsa_user_sgpr_dispatch_id 0
		.amdhsa_user_sgpr_flat_scratch_init 0
		.amdhsa_user_sgpr_private_segment_size 0
		.amdhsa_wavefront_size32 1
		.amdhsa_uses_dynamic_stack 0
		.amdhsa_system_sgpr_private_segment_wavefront_offset 0
		.amdhsa_system_sgpr_workgroup_id_x 1
		.amdhsa_system_sgpr_workgroup_id_y 0
		.amdhsa_system_sgpr_workgroup_id_z 0
		.amdhsa_system_sgpr_workgroup_info 0
		.amdhsa_system_vgpr_workitem_id 0
		.amdhsa_next_free_vgpr 79
		.amdhsa_next_free_sgpr 23
		.amdhsa_reserve_vcc 1
		.amdhsa_reserve_flat_scratch 0
		.amdhsa_float_round_mode_32 0
		.amdhsa_float_round_mode_16_64 0
		.amdhsa_float_denorm_mode_32 3
		.amdhsa_float_denorm_mode_16_64 3
		.amdhsa_dx10_clamp 1
		.amdhsa_ieee_mode 1
		.amdhsa_fp16_overflow 0
		.amdhsa_workgroup_processor_mode 1
		.amdhsa_memory_ordered 1
		.amdhsa_forward_progress 0
		.amdhsa_shared_vgpr_count 0
		.amdhsa_exception_fp_ieee_invalid_op 0
		.amdhsa_exception_fp_denorm_src 0
		.amdhsa_exception_fp_ieee_div_zero 0
		.amdhsa_exception_fp_ieee_overflow 0
		.amdhsa_exception_fp_ieee_underflow 0
		.amdhsa_exception_fp_ieee_inexact 0
		.amdhsa_exception_int_div_zero 0
	.end_amdhsa_kernel
	.text
.Lfunc_end0:
	.size	fft_rtc_fwd_len168_factors_2_6_7_2_wgs_140_tpt_14_dim2_sp_ip_CI_sbcc_twdbase8_3step_dirReg, .Lfunc_end0-fft_rtc_fwd_len168_factors_2_6_7_2_wgs_140_tpt_14_dim2_sp_ip_CI_sbcc_twdbase8_3step_dirReg
                                        ; -- End function
	.section	.AMDGPU.csdata,"",@progbits
; Kernel info:
; codeLenInByte = 8800
; NumSgprs: 25
; NumVgprs: 79
; ScratchSize: 0
; MemoryBound: 0
; FloatMode: 240
; IeeeMode: 1
; LDSByteSize: 0 bytes/workgroup (compile time only)
; SGPRBlocks: 3
; VGPRBlocks: 9
; NumSGPRsForWavesPerEU: 25
; NumVGPRsForWavesPerEU: 79
; Occupancy: 12
; WaveLimiterHint : 1
; COMPUTE_PGM_RSRC2:SCRATCH_EN: 0
; COMPUTE_PGM_RSRC2:USER_SGPR: 6
; COMPUTE_PGM_RSRC2:TRAP_HANDLER: 0
; COMPUTE_PGM_RSRC2:TGID_X_EN: 1
; COMPUTE_PGM_RSRC2:TGID_Y_EN: 0
; COMPUTE_PGM_RSRC2:TGID_Z_EN: 0
; COMPUTE_PGM_RSRC2:TIDIG_COMP_CNT: 0
	.text
	.p2alignl 6, 3214868480
	.fill 48, 4, 3214868480
	.type	__hip_cuid_ce81b7eed05801f8,@object ; @__hip_cuid_ce81b7eed05801f8
	.section	.bss,"aw",@nobits
	.globl	__hip_cuid_ce81b7eed05801f8
__hip_cuid_ce81b7eed05801f8:
	.byte	0                               ; 0x0
	.size	__hip_cuid_ce81b7eed05801f8, 1

	.ident	"AMD clang version 19.0.0git (https://github.com/RadeonOpenCompute/llvm-project roc-6.4.0 25133 c7fe45cf4b819c5991fe208aaa96edf142730f1d)"
	.section	".note.GNU-stack","",@progbits
	.addrsig
	.addrsig_sym __hip_cuid_ce81b7eed05801f8
	.amdgpu_metadata
---
amdhsa.kernels:
  - .args:
      - .actual_access:  read_only
        .address_space:  global
        .offset:         0
        .size:           8
        .value_kind:     global_buffer
      - .address_space:  global
        .offset:         8
        .size:           8
        .value_kind:     global_buffer
      - .actual_access:  read_only
        .address_space:  global
        .offset:         16
        .size:           8
        .value_kind:     global_buffer
      - .actual_access:  read_only
        .address_space:  global
        .offset:         24
        .size:           8
        .value_kind:     global_buffer
      - .offset:         32
        .size:           8
        .value_kind:     by_value
      - .actual_access:  read_only
        .address_space:  global
        .offset:         40
        .size:           8
        .value_kind:     global_buffer
      - .actual_access:  read_only
        .address_space:  global
        .offset:         48
        .size:           8
        .value_kind:     global_buffer
      - .offset:         56
        .size:           4
        .value_kind:     by_value
      - .actual_access:  read_only
        .address_space:  global
        .offset:         64
        .size:           8
        .value_kind:     global_buffer
      - .actual_access:  read_only
        .address_space:  global
        .offset:         72
        .size:           8
        .value_kind:     global_buffer
      - .address_space:  global
        .offset:         80
        .size:           8
        .value_kind:     global_buffer
    .group_segment_fixed_size: 0
    .kernarg_segment_align: 8
    .kernarg_segment_size: 88
    .language:       OpenCL C
    .language_version:
      - 2
      - 0
    .max_flat_workgroup_size: 140
    .name:           fft_rtc_fwd_len168_factors_2_6_7_2_wgs_140_tpt_14_dim2_sp_ip_CI_sbcc_twdbase8_3step_dirReg
    .private_segment_fixed_size: 0
    .sgpr_count:     25
    .sgpr_spill_count: 0
    .symbol:         fft_rtc_fwd_len168_factors_2_6_7_2_wgs_140_tpt_14_dim2_sp_ip_CI_sbcc_twdbase8_3step_dirReg.kd
    .uniform_work_group_size: 1
    .uses_dynamic_stack: false
    .vgpr_count:     79
    .vgpr_spill_count: 0
    .wavefront_size: 32
    .workgroup_processor_mode: 1
amdhsa.target:   amdgcn-amd-amdhsa--gfx1030
amdhsa.version:
  - 1
  - 2
...

	.end_amdgpu_metadata
